;; amdgpu-corpus repo=ROCm/rocFFT kind=compiled arch=gfx906 opt=O3
	.text
	.amdgcn_target "amdgcn-amd-amdhsa--gfx906"
	.amdhsa_code_object_version 6
	.protected	fft_rtc_fwd_len156_factors_3_4_13_wgs_117_tpt_13_dp_op_CI_CI_unitstride_sbrr_C2R_dirReg ; -- Begin function fft_rtc_fwd_len156_factors_3_4_13_wgs_117_tpt_13_dp_op_CI_CI_unitstride_sbrr_C2R_dirReg
	.globl	fft_rtc_fwd_len156_factors_3_4_13_wgs_117_tpt_13_dp_op_CI_CI_unitstride_sbrr_C2R_dirReg
	.p2align	8
	.type	fft_rtc_fwd_len156_factors_3_4_13_wgs_117_tpt_13_dp_op_CI_CI_unitstride_sbrr_C2R_dirReg,@function
fft_rtc_fwd_len156_factors_3_4_13_wgs_117_tpt_13_dp_op_CI_CI_unitstride_sbrr_C2R_dirReg: ; @fft_rtc_fwd_len156_factors_3_4_13_wgs_117_tpt_13_dp_op_CI_CI_unitstride_sbrr_C2R_dirReg
; %bb.0:
	s_load_dwordx4 s[8:11], s[4:5], 0x58
	s_load_dwordx4 s[12:15], s[4:5], 0x0
	;; [unrolled: 1-line block ×3, first 2 shown]
	v_mul_u32_u24_e32 v1, 0x13b2, v0
	v_lshrrev_b32_e32 v1, 16, v1
	v_mad_u64_u32 v[3:4], s[0:1], s6, 9, v[1:2]
	v_mov_b32_e32 v5, 0
	v_mov_b32_e32 v1, 0
	;; [unrolled: 1-line block ×3, first 2 shown]
	s_waitcnt lgkmcnt(0)
	v_cmp_lt_u64_e64 s[0:1], s[14:15], 2
	v_mov_b32_e32 v2, 0
	v_mov_b32_e32 v61, v2
	;; [unrolled: 1-line block ×3, first 2 shown]
	s_and_b64 vcc, exec, s[0:1]
	v_mov_b32_e32 v60, v1
	v_mov_b32_e32 v62, v3
	s_cbranch_vccnz .LBB0_8
; %bb.1:
	s_load_dwordx2 s[0:1], s[4:5], 0x10
	s_add_u32 s2, s18, 8
	s_addc_u32 s3, s19, 0
	s_add_u32 s6, s16, 8
	v_mov_b32_e32 v1, 0
	s_addc_u32 s7, s17, 0
	v_mov_b32_e32 v2, 0
	s_waitcnt lgkmcnt(0)
	s_add_u32 s20, s0, 8
	v_mov_b32_e32 v61, v2
	v_mov_b32_e32 v8, v4
	s_addc_u32 s21, s1, 0
	s_mov_b64 s[22:23], 1
	v_mov_b32_e32 v60, v1
	v_mov_b32_e32 v7, v3
.LBB0_2:                                ; =>This Inner Loop Header: Depth=1
	s_load_dwordx2 s[24:25], s[20:21], 0x0
                                        ; implicit-def: $vgpr62_vgpr63
	s_waitcnt lgkmcnt(0)
	v_or_b32_e32 v6, s25, v8
	v_cmp_ne_u64_e32 vcc, 0, v[5:6]
	s_and_saveexec_b64 s[0:1], vcc
	s_xor_b64 s[26:27], exec, s[0:1]
	s_cbranch_execz .LBB0_4
; %bb.3:                                ;   in Loop: Header=BB0_2 Depth=1
	v_cvt_f32_u32_e32 v4, s24
	v_cvt_f32_u32_e32 v6, s25
	s_sub_u32 s0, 0, s24
	s_subb_u32 s1, 0, s25
	v_mac_f32_e32 v4, 0x4f800000, v6
	v_rcp_f32_e32 v4, v4
	v_mul_f32_e32 v4, 0x5f7ffffc, v4
	v_mul_f32_e32 v6, 0x2f800000, v4
	v_trunc_f32_e32 v6, v6
	v_mac_f32_e32 v4, 0xcf800000, v6
	v_cvt_u32_f32_e32 v6, v6
	v_cvt_u32_f32_e32 v4, v4
	v_mul_lo_u32 v9, s0, v6
	v_mul_hi_u32 v10, s0, v4
	v_mul_lo_u32 v12, s1, v4
	v_mul_lo_u32 v11, s0, v4
	v_add_u32_e32 v9, v10, v9
	v_add_u32_e32 v9, v9, v12
	v_mul_hi_u32 v10, v4, v11
	v_mul_lo_u32 v12, v4, v9
	v_mul_hi_u32 v14, v4, v9
	v_mul_hi_u32 v13, v6, v11
	v_mul_lo_u32 v11, v6, v11
	v_mul_hi_u32 v15, v6, v9
	v_add_co_u32_e32 v10, vcc, v10, v12
	v_addc_co_u32_e32 v12, vcc, 0, v14, vcc
	v_mul_lo_u32 v9, v6, v9
	v_add_co_u32_e32 v10, vcc, v10, v11
	v_addc_co_u32_e32 v10, vcc, v12, v13, vcc
	v_addc_co_u32_e32 v11, vcc, 0, v15, vcc
	v_add_co_u32_e32 v9, vcc, v10, v9
	v_addc_co_u32_e32 v10, vcc, 0, v11, vcc
	v_add_co_u32_e32 v4, vcc, v4, v9
	v_addc_co_u32_e32 v6, vcc, v6, v10, vcc
	v_mul_lo_u32 v9, s0, v6
	v_mul_hi_u32 v10, s0, v4
	v_mul_lo_u32 v11, s1, v4
	v_mul_lo_u32 v12, s0, v4
	v_add_u32_e32 v9, v10, v9
	v_add_u32_e32 v9, v9, v11
	v_mul_lo_u32 v13, v4, v9
	v_mul_hi_u32 v14, v4, v12
	v_mul_hi_u32 v15, v4, v9
	;; [unrolled: 1-line block ×3, first 2 shown]
	v_mul_lo_u32 v12, v6, v12
	v_mul_hi_u32 v10, v6, v9
	v_add_co_u32_e32 v13, vcc, v14, v13
	v_addc_co_u32_e32 v14, vcc, 0, v15, vcc
	v_mul_lo_u32 v9, v6, v9
	v_add_co_u32_e32 v12, vcc, v13, v12
	v_addc_co_u32_e32 v11, vcc, v14, v11, vcc
	v_addc_co_u32_e32 v10, vcc, 0, v10, vcc
	v_add_co_u32_e32 v9, vcc, v11, v9
	v_addc_co_u32_e32 v10, vcc, 0, v10, vcc
	v_add_co_u32_e32 v4, vcc, v4, v9
	v_addc_co_u32_e32 v6, vcc, v6, v10, vcc
	v_mad_u64_u32 v[9:10], s[0:1], v7, v6, 0
	v_mul_hi_u32 v11, v7, v4
	v_add_co_u32_e32 v13, vcc, v11, v9
	v_addc_co_u32_e32 v14, vcc, 0, v10, vcc
	v_mad_u64_u32 v[9:10], s[0:1], v8, v4, 0
	v_mad_u64_u32 v[11:12], s[0:1], v8, v6, 0
	v_add_co_u32_e32 v4, vcc, v13, v9
	v_addc_co_u32_e32 v4, vcc, v14, v10, vcc
	v_addc_co_u32_e32 v6, vcc, 0, v12, vcc
	v_add_co_u32_e32 v4, vcc, v4, v11
	v_addc_co_u32_e32 v6, vcc, 0, v6, vcc
	v_mul_lo_u32 v11, s25, v4
	v_mul_lo_u32 v12, s24, v6
	v_mad_u64_u32 v[9:10], s[0:1], s24, v4, 0
	v_add3_u32 v10, v10, v12, v11
	v_sub_u32_e32 v11, v8, v10
	v_mov_b32_e32 v12, s25
	v_sub_co_u32_e32 v9, vcc, v7, v9
	v_subb_co_u32_e64 v11, s[0:1], v11, v12, vcc
	v_subrev_co_u32_e64 v12, s[0:1], s24, v9
	v_subbrev_co_u32_e64 v11, s[0:1], 0, v11, s[0:1]
	v_cmp_le_u32_e64 s[0:1], s25, v11
	v_cndmask_b32_e64 v13, 0, -1, s[0:1]
	v_cmp_le_u32_e64 s[0:1], s24, v12
	v_cndmask_b32_e64 v12, 0, -1, s[0:1]
	v_cmp_eq_u32_e64 s[0:1], s25, v11
	v_cndmask_b32_e64 v11, v13, v12, s[0:1]
	v_add_co_u32_e64 v12, s[0:1], 2, v4
	v_addc_co_u32_e64 v13, s[0:1], 0, v6, s[0:1]
	v_add_co_u32_e64 v14, s[0:1], 1, v4
	v_addc_co_u32_e64 v15, s[0:1], 0, v6, s[0:1]
	v_subb_co_u32_e32 v10, vcc, v8, v10, vcc
	v_cmp_ne_u32_e64 s[0:1], 0, v11
	v_cmp_le_u32_e32 vcc, s25, v10
	v_cndmask_b32_e64 v11, v15, v13, s[0:1]
	v_cndmask_b32_e64 v13, 0, -1, vcc
	v_cmp_le_u32_e32 vcc, s24, v9
	v_cndmask_b32_e64 v9, 0, -1, vcc
	v_cmp_eq_u32_e32 vcc, s25, v10
	v_cndmask_b32_e32 v9, v13, v9, vcc
	v_cmp_ne_u32_e32 vcc, 0, v9
	v_cndmask_b32_e32 v63, v6, v11, vcc
	v_cndmask_b32_e64 v6, v14, v12, s[0:1]
	v_cndmask_b32_e32 v62, v4, v6, vcc
.LBB0_4:                                ;   in Loop: Header=BB0_2 Depth=1
	s_andn2_saveexec_b64 s[0:1], s[26:27]
	s_cbranch_execz .LBB0_6
; %bb.5:                                ;   in Loop: Header=BB0_2 Depth=1
	v_cvt_f32_u32_e32 v4, s24
	s_sub_i32 s26, 0, s24
	v_mov_b32_e32 v63, v5
	v_rcp_iflag_f32_e32 v4, v4
	v_mul_f32_e32 v4, 0x4f7ffffe, v4
	v_cvt_u32_f32_e32 v4, v4
	v_mul_lo_u32 v6, s26, v4
	v_mul_hi_u32 v6, v4, v6
	v_add_u32_e32 v4, v4, v6
	v_mul_hi_u32 v4, v7, v4
	v_mul_lo_u32 v6, v4, s24
	v_add_u32_e32 v9, 1, v4
	v_sub_u32_e32 v6, v7, v6
	v_subrev_u32_e32 v10, s24, v6
	v_cmp_le_u32_e32 vcc, s24, v6
	v_cndmask_b32_e32 v6, v6, v10, vcc
	v_cndmask_b32_e32 v4, v4, v9, vcc
	v_add_u32_e32 v9, 1, v4
	v_cmp_le_u32_e32 vcc, s24, v6
	v_cndmask_b32_e32 v62, v4, v9, vcc
.LBB0_6:                                ;   in Loop: Header=BB0_2 Depth=1
	s_or_b64 exec, exec, s[0:1]
	v_mul_lo_u32 v4, v63, s24
	v_mul_lo_u32 v6, v62, s25
	v_mad_u64_u32 v[9:10], s[0:1], v62, s24, 0
	s_load_dwordx2 s[0:1], s[6:7], 0x0
	s_load_dwordx2 s[24:25], s[2:3], 0x0
	v_add3_u32 v4, v10, v6, v4
	v_sub_co_u32_e32 v6, vcc, v7, v9
	v_subb_co_u32_e32 v4, vcc, v8, v4, vcc
	s_waitcnt lgkmcnt(0)
	v_mul_lo_u32 v7, s0, v4
	v_mul_lo_u32 v8, s1, v6
	v_mad_u64_u32 v[1:2], s[0:1], s0, v6, v[1:2]
	s_add_u32 s22, s22, 1
	s_addc_u32 s23, s23, 0
	s_add_u32 s2, s2, 8
	v_mul_lo_u32 v4, s24, v4
	v_mul_lo_u32 v9, s25, v6
	v_mad_u64_u32 v[60:61], s[0:1], s24, v6, v[60:61]
	v_add3_u32 v2, v8, v2, v7
	s_addc_u32 s3, s3, 0
	v_mov_b32_e32 v6, s14
	s_add_u32 s6, s6, 8
	v_mov_b32_e32 v7, s15
	s_addc_u32 s7, s7, 0
	v_cmp_ge_u64_e32 vcc, s[22:23], v[6:7]
	s_add_u32 s20, s20, 8
	v_add3_u32 v61, v9, v61, v4
	s_addc_u32 s21, s21, 0
	s_cbranch_vccnz .LBB0_8
; %bb.7:                                ;   in Loop: Header=BB0_2 Depth=1
	v_mov_b32_e32 v7, v62
	v_mov_b32_e32 v8, v63
	s_branch .LBB0_2
.LBB0_8:
	s_mov_b32 s2, 0x38e38e39
	s_load_dwordx2 s[0:1], s[4:5], 0x28
	v_mul_hi_u32 v4, v3, s2
	s_lshl_b64 s[6:7], s[14:15], 3
	s_add_u32 s2, s18, s6
	s_addc_u32 s3, s19, s7
	v_lshrrev_b32_e32 v4, 1, v4
	v_lshl_add_u32 v4, v4, 3, v4
	s_waitcnt lgkmcnt(0)
	v_cmp_gt_u64_e32 vcc, s[0:1], v[62:63]
	v_cmp_le_u64_e64 s[0:1], s[0:1], v[62:63]
	v_sub_u32_e32 v3, v3, v4
                                        ; implicit-def: $vgpr64
	s_and_saveexec_b64 s[4:5], s[0:1]
	s_xor_b64 s[0:1], exec, s[4:5]
; %bb.9:
	s_mov_b32 s4, 0x13b13b14
	v_mul_hi_u32 v1, v0, s4
	v_mul_u32_u24_e32 v1, 13, v1
	v_sub_u32_e32 v64, v0, v1
                                        ; implicit-def: $vgpr0
                                        ; implicit-def: $vgpr1_vgpr2
; %bb.10:
	s_or_saveexec_b64 s[4:5], s[0:1]
	s_load_dwordx2 s[2:3], s[2:3], 0x0
	v_mul_u32_u24_e32 v3, 0x9d, v3
	v_lshlrev_b32_e32 v10, 4, v3
	s_xor_b64 exec, exec, s[4:5]
	s_cbranch_execz .LBB0_14
; %bb.11:
	s_add_u32 s0, s16, s6
	s_addc_u32 s1, s17, s7
	s_load_dwordx2 s[0:1], s[0:1], 0x0
	s_mov_b32 s6, 0x13b13b14
	v_mul_hi_u32 v6, v0, s6
	s_waitcnt lgkmcnt(0)
	v_mul_lo_u32 v7, s1, v62
	v_mul_lo_u32 v8, s0, v63
	v_mad_u64_u32 v[4:5], s[0:1], s0, v62, 0
	v_mul_u32_u24_e32 v6, 13, v6
	v_sub_u32_e32 v64, v0, v6
	v_add3_u32 v5, v5, v8, v7
	v_lshlrev_b64 v[4:5], 4, v[4:5]
	v_mov_b32_e32 v0, s9
	v_add_co_u32_e64 v4, s[0:1], s8, v4
	v_addc_co_u32_e64 v5, s[0:1], v0, v5, s[0:1]
	v_lshlrev_b64 v[0:1], 4, v[1:2]
	v_lshlrev_b32_e32 v2, 4, v64
	v_add_co_u32_e64 v0, s[0:1], v4, v0
	v_addc_co_u32_e64 v1, s[0:1], v5, v1, s[0:1]
	v_add_co_u32_e64 v8, s[0:1], v0, v2
	v_addc_co_u32_e64 v9, s[0:1], 0, v1, s[0:1]
	global_load_dwordx4 v[4:7], v[8:9], off
	global_load_dwordx4 v[11:14], v[8:9], off offset:208
	global_load_dwordx4 v[15:18], v[8:9], off offset:416
	;; [unrolled: 1-line block ×11, first 2 shown]
	v_add3_u32 v2, 0, v10, v2
	v_cmp_eq_u32_e64 s[0:1], 12, v64
	s_waitcnt vmcnt(11)
	ds_write_b128 v2, v[4:7]
	s_waitcnt vmcnt(10)
	ds_write_b128 v2, v[11:14] offset:208
	s_waitcnt vmcnt(9)
	ds_write_b128 v2, v[15:18] offset:416
	s_waitcnt vmcnt(8)
	ds_write_b128 v2, v[19:22] offset:624
	s_waitcnt vmcnt(7)
	ds_write_b128 v2, v[23:26] offset:832
	s_waitcnt vmcnt(6)
	ds_write_b128 v2, v[27:30] offset:1040
	s_waitcnt vmcnt(5)
	ds_write_b128 v2, v[31:34] offset:1248
	s_waitcnt vmcnt(4)
	ds_write_b128 v2, v[35:38] offset:1456
	s_waitcnt vmcnt(3)
	ds_write_b128 v2, v[39:42] offset:1664
	s_waitcnt vmcnt(2)
	ds_write_b128 v2, v[43:46] offset:1872
	s_waitcnt vmcnt(1)
	ds_write_b128 v2, v[47:50] offset:2080
	s_waitcnt vmcnt(0)
	ds_write_b128 v2, v[51:54] offset:2288
	s_and_saveexec_b64 s[6:7], s[0:1]
	s_cbranch_execz .LBB0_13
; %bb.12:
	global_load_dwordx4 v[4:7], v[0:1], off offset:2496
	v_mov_b32_e32 v64, 12
	s_waitcnt vmcnt(0)
	ds_write_b128 v2, v[4:7] offset:2304
.LBB0_13:
	s_or_b64 exec, exec, s[6:7]
.LBB0_14:
	s_or_b64 exec, exec, s[4:5]
	v_lshl_add_u32 v125, v3, 4, 0
	v_lshlrev_b32_e32 v12, 4, v64
	v_add_u32_e32 v126, v125, v12
	s_waitcnt lgkmcnt(0)
	s_barrier
	v_sub_u32_e32 v11, v125, v12
	ds_read_b64 v[6:7], v126
	ds_read_b64 v[8:9], v11 offset:2496
	v_cmp_ne_u32_e64 s[0:1], 0, v64
                                        ; implicit-def: $vgpr4_vgpr5
	s_waitcnt lgkmcnt(0)
	v_add_f64 v[0:1], v[6:7], v[8:9]
	v_add_f64 v[2:3], v[6:7], -v[8:9]
	s_and_saveexec_b64 s[4:5], s[0:1]
	s_xor_b64 s[4:5], exec, s[4:5]
	s_cbranch_execz .LBB0_16
; %bb.15:
	v_mov_b32_e32 v65, 0
	v_lshlrev_b64 v[0:1], 4, v[64:65]
	v_mov_b32_e32 v2, s13
	v_add_co_u32_e64 v0, s[0:1], s12, v0
	v_addc_co_u32_e64 v1, s[0:1], v2, v1, s[0:1]
	global_load_dwordx4 v[2:5], v[0:1], off offset:2448
	ds_read_b64 v[0:1], v11 offset:2504
	ds_read_b64 v[13:14], v126 offset:8
	v_add_f64 v[15:16], v[6:7], v[8:9]
	v_add_f64 v[8:9], v[6:7], -v[8:9]
	s_waitcnt lgkmcnt(0)
	v_add_f64 v[17:18], v[0:1], v[13:14]
	v_add_f64 v[0:1], v[13:14], -v[0:1]
	s_waitcnt vmcnt(0)
	v_fma_f64 v[6:7], -v[8:9], v[4:5], v[15:16]
	v_fma_f64 v[13:14], v[17:18], v[4:5], -v[0:1]
	v_fma_f64 v[15:16], v[8:9], v[4:5], v[15:16]
	v_fma_f64 v[19:20], v[17:18], v[4:5], v[0:1]
	;; [unrolled: 1-line block ×4, first 2 shown]
	v_fma_f64 v[0:1], -v[17:18], v[2:3], v[15:16]
	v_fma_f64 v[2:3], v[8:9], v[2:3], v[19:20]
	ds_write_b128 v11, v[4:7] offset:2496
	v_mov_b32_e32 v4, v64
	v_mov_b32_e32 v5, v65
.LBB0_16:
	s_andn2_saveexec_b64 s[0:1], s[4:5]
	s_cbranch_execz .LBB0_18
; %bb.17:
	ds_read_b128 v[4:7], v125 offset:1248
	s_waitcnt lgkmcnt(0)
	v_add_f64 v[13:14], v[4:5], v[4:5]
	v_mul_f64 v[15:16], v[6:7], -2.0
	v_mov_b32_e32 v4, 0
	v_mov_b32_e32 v5, 0
	ds_write_b128 v125, v[13:16] offset:1248
.LBB0_18:
	s_or_b64 exec, exec, s[0:1]
	s_add_u32 s0, s12, 0x990
	v_lshlrev_b64 v[4:5], 4, v[4:5]
	s_addc_u32 s1, s13, 0
	v_mov_b32_e32 v6, s1
	v_add_co_u32_e64 v25, s[0:1], s0, v4
	v_addc_co_u32_e64 v26, s[0:1], v6, v5, s[0:1]
	global_load_dwordx4 v[4:7], v[25:26], off offset:208
	global_load_dwordx4 v[13:16], v[25:26], off offset:416
	ds_write_b128 v126, v[0:3]
	ds_read_b128 v[0:3], v126 offset:208
	ds_read_b128 v[17:20], v11 offset:2288
	global_load_dwordx4 v[21:24], v[25:26], off offset:624
	v_add3_u32 v127, 0, v12, v10
	s_movk_i32 s6, 0xab
	v_add_u16_e32 v96, 26, v64
	s_waitcnt lgkmcnt(0)
	v_add_f64 v[8:9], v[0:1], v[17:18]
	v_add_f64 v[27:28], v[19:20], v[2:3]
	v_add_f64 v[17:18], v[0:1], -v[17:18]
	v_add_f64 v[0:1], v[2:3], -v[19:20]
	v_add_u16_e32 v95, 13, v64
	v_mov_b32_e32 v59, 4
	s_mov_b32 s0, 0xe8584caa
	s_mov_b32 s1, 0x3febb67a
	;; [unrolled: 1-line block ×4, first 2 shown]
	v_lshl_add_u32 v98, v64, 5, v127
	v_mov_b32_e32 v97, 3
	s_waitcnt vmcnt(2)
	v_fma_f64 v[2:3], v[17:18], v[6:7], v[8:9]
	v_fma_f64 v[19:20], v[27:28], v[6:7], v[0:1]
	v_fma_f64 v[8:9], -v[17:18], v[6:7], v[8:9]
	v_fma_f64 v[29:30], v[27:28], v[6:7], -v[0:1]
	v_fma_f64 v[0:1], -v[27:28], v[4:5], v[2:3]
	v_fma_f64 v[2:3], v[17:18], v[4:5], v[19:20]
	v_fma_f64 v[6:7], v[27:28], v[4:5], v[8:9]
	;; [unrolled: 1-line block ×3, first 2 shown]
	ds_write_b128 v126, v[0:3] offset:208
	ds_write_b128 v11, v[6:9] offset:2288
	ds_read_b128 v[0:3], v126 offset:416
	ds_read_b128 v[4:7], v11 offset:2080
	global_load_dwordx4 v[17:20], v[25:26], off offset:832
	s_waitcnt lgkmcnt(0)
	v_add_f64 v[8:9], v[0:1], v[4:5]
	v_add_f64 v[27:28], v[6:7], v[2:3]
	v_add_f64 v[29:30], v[0:1], -v[4:5]
	v_add_f64 v[0:1], v[2:3], -v[6:7]
	s_waitcnt vmcnt(2)
	v_fma_f64 v[2:3], v[29:30], v[15:16], v[8:9]
	v_fma_f64 v[4:5], v[27:28], v[15:16], v[0:1]
	v_fma_f64 v[6:7], -v[29:30], v[15:16], v[8:9]
	v_fma_f64 v[8:9], v[27:28], v[15:16], -v[0:1]
	v_fma_f64 v[0:1], -v[27:28], v[13:14], v[2:3]
	v_fma_f64 v[2:3], v[29:30], v[13:14], v[4:5]
	v_fma_f64 v[4:5], v[27:28], v[13:14], v[6:7]
	;; [unrolled: 1-line block ×3, first 2 shown]
	ds_write_b128 v126, v[0:3] offset:416
	ds_write_b128 v11, v[4:7] offset:2080
	ds_read_b128 v[4:7], v126 offset:624
	ds_read_b128 v[13:16], v11 offset:1872
	global_load_dwordx4 v[0:3], v[25:26], off offset:1040
	s_waitcnt lgkmcnt(0)
	v_add_f64 v[8:9], v[4:5], v[13:14]
	v_add_f64 v[25:26], v[15:16], v[6:7]
	v_add_f64 v[27:28], v[4:5], -v[13:14]
	v_add_f64 v[4:5], v[6:7], -v[15:16]
	s_waitcnt vmcnt(2)
	v_fma_f64 v[6:7], v[27:28], v[23:24], v[8:9]
	v_fma_f64 v[13:14], v[25:26], v[23:24], v[4:5]
	v_fma_f64 v[8:9], -v[27:28], v[23:24], v[8:9]
	v_fma_f64 v[15:16], v[25:26], v[23:24], -v[4:5]
	v_fma_f64 v[4:5], -v[25:26], v[21:22], v[6:7]
	v_fma_f64 v[6:7], v[27:28], v[21:22], v[13:14]
	v_fma_f64 v[13:14], v[25:26], v[21:22], v[8:9]
	;; [unrolled: 1-line block ×3, first 2 shown]
	ds_write_b128 v126, v[4:7] offset:624
	ds_write_b128 v11, v[13:16] offset:1872
	ds_read_b128 v[4:7], v126 offset:832
	ds_read_b128 v[13:16], v11 offset:1664
	s_waitcnt lgkmcnt(0)
	v_add_f64 v[8:9], v[4:5], v[13:14]
	v_add_f64 v[21:22], v[15:16], v[6:7]
	v_add_f64 v[23:24], v[4:5], -v[13:14]
	v_add_f64 v[4:5], v[6:7], -v[15:16]
	s_waitcnt vmcnt(1)
	v_fma_f64 v[6:7], v[23:24], v[19:20], v[8:9]
	v_fma_f64 v[13:14], v[21:22], v[19:20], v[4:5]
	v_fma_f64 v[8:9], -v[23:24], v[19:20], v[8:9]
	v_fma_f64 v[15:16], v[21:22], v[19:20], -v[4:5]
	v_mul_lo_u16_sdwa v20, v64, s6 dst_sel:DWORD dst_unused:UNUSED_PAD src0_sel:BYTE_0 src1_sel:DWORD
	v_lshrrev_b16_e32 v99, 9, v20
	v_fma_f64 v[4:5], -v[21:22], v[17:18], v[6:7]
	v_fma_f64 v[6:7], v[23:24], v[17:18], v[13:14]
	v_fma_f64 v[13:14], v[21:22], v[17:18], v[8:9]
	;; [unrolled: 1-line block ×3, first 2 shown]
	ds_write_b128 v126, v[4:7] offset:832
	ds_write_b128 v11, v[13:16] offset:1664
	ds_read_b128 v[4:7], v126 offset:1040
	ds_read_b128 v[12:15], v11 offset:1456
	v_mul_lo_u16_sdwa v21, v95, s6 dst_sel:DWORD dst_unused:UNUSED_PAD src0_sel:BYTE_0 src1_sel:DWORD
	v_lshrrev_b16_e32 v100, 9, v21
	v_mul_lo_u16_e32 v102, 3, v100
	s_waitcnt lgkmcnt(0)
	v_add_f64 v[8:9], v[4:5], v[12:13]
	v_add_f64 v[16:17], v[14:15], v[6:7]
	v_add_f64 v[12:13], v[4:5], -v[12:13]
	v_add_f64 v[4:5], v[6:7], -v[14:15]
	s_waitcnt vmcnt(0)
	v_fma_f64 v[6:7], v[12:13], v[2:3], v[8:9]
	v_fma_f64 v[14:15], v[16:17], v[2:3], v[4:5]
	v_fma_f64 v[8:9], -v[12:13], v[2:3], v[8:9]
	v_fma_f64 v[18:19], v[16:17], v[2:3], -v[4:5]
	v_mul_lo_u16_sdwa v2, v96, s6 dst_sel:DWORD dst_unused:UNUSED_PAD src0_sel:BYTE_0 src1_sel:DWORD
	v_lshrrev_b16_e32 v101, 9, v2
	v_mul_lo_u16_e32 v103, 3, v101
	v_fma_f64 v[2:3], -v[16:17], v[0:1], v[6:7]
	v_fma_f64 v[4:5], v[12:13], v[0:1], v[14:15]
	v_fma_f64 v[6:7], v[16:17], v[0:1], v[8:9]
	;; [unrolled: 1-line block ×3, first 2 shown]
	v_mul_lo_u16_e32 v0, 3, v99
	v_sub_u16_e32 v104, v64, v0
	v_mul_lo_u16_e32 v0, 3, v104
	v_lshlrev_b32_sdwa v105, v59, v0 dst_sel:DWORD dst_unused:UNUSED_PAD src0_sel:DWORD src1_sel:BYTE_0
	ds_write_b128 v126, v[2:5] offset:1040
	ds_write_b128 v11, v[6:9] offset:1456
	s_waitcnt lgkmcnt(0)
	s_barrier
	s_barrier
	ds_read_b128 v[0:3], v126
	ds_read_b128 v[4:7], v127 offset:208
	ds_read_b128 v[11:14], v127 offset:832
	;; [unrolled: 1-line block ×11, first 2 shown]
	s_waitcnt lgkmcnt(9)
	v_add_f64 v[8:9], v[0:1], v[11:12]
	s_waitcnt lgkmcnt(7)
	v_add_f64 v[53:54], v[11:12], v[19:20]
	v_add_f64 v[57:58], v[13:14], v[21:22]
	v_add_f64 v[67:68], v[4:5], v[15:16]
	v_add_f64 v[69:70], v[6:7], v[17:18]
	s_waitcnt lgkmcnt(6)
	v_add_f64 v[71:72], v[15:16], v[23:24]
	v_add_f64 v[75:76], v[17:18], v[25:26]
	s_waitcnt lgkmcnt(3)
	v_add_f64 v[79:80], v[27:28], v[35:36]
	v_add_f64 v[51:52], v[2:3], v[13:14]
	;; [unrolled: 1-line block ×3, first 2 shown]
	s_waitcnt lgkmcnt(1)
	v_add_f64 v[83:84], v[35:36], v[43:44]
	v_add_f64 v[85:86], v[37:38], -v[45:46]
	v_add_f64 v[37:38], v[37:38], v[45:46]
	s_waitcnt lgkmcnt(0)
	v_add_f64 v[91:92], v[39:40], v[47:48]
	v_add_f64 v[93:94], v[41:42], v[49:50]
	v_add_f64 v[55:56], v[13:14], -v[21:22]
	v_add_f64 v[65:66], v[11:12], -v[19:20]
	;; [unrolled: 1-line block ×3, first 2 shown]
	v_add_f64 v[11:12], v[8:9], v[19:20]
	v_add_f64 v[15:16], v[67:68], v[23:24]
	v_fma_f64 v[8:9], v[53:54], -0.5, v[0:1]
	v_fma_f64 v[23:24], v[57:58], -0.5, v[2:3]
	v_add_f64 v[73:74], v[17:18], -v[25:26]
	v_add_f64 v[35:36], v[35:36], -v[43:44]
	v_add_f64 v[17:18], v[69:70], v[25:26]
	v_add_f64 v[19:20], v[79:80], v[43:44]
	v_fma_f64 v[25:26], v[71:72], -0.5, v[4:5]
	v_fma_f64 v[43:44], v[75:76], -0.5, v[6:7]
	v_add_f64 v[13:14], v[51:52], v[21:22]
	v_add_f64 v[21:22], v[81:82], v[45:46]
	v_fma_f64 v[45:46], v[83:84], -0.5, v[27:28]
	v_fma_f64 v[37:38], v[37:38], -0.5, v[29:30]
	v_add_f64 v[87:88], v[31:32], v[39:40]
	v_add_f64 v[89:90], v[33:34], v[41:42]
	v_add_f64 v[41:42], v[41:42], -v[49:50]
	v_fma_f64 v[31:32], v[91:92], -0.5, v[31:32]
	v_add_f64 v[39:40], v[39:40], -v[47:48]
	v_fma_f64 v[33:34], v[93:94], -0.5, v[33:34]
	v_fma_f64 v[0:1], v[55:56], s[0:1], v[8:9]
	v_fma_f64 v[2:3], v[65:66], s[4:5], v[23:24]
	;; [unrolled: 1-line block ×8, first 2 shown]
	s_barrier
	ds_write_b128 v98, v[11:14]
	ds_write_b128 v98, v[15:18] offset:624
	ds_write_b128 v98, v[19:22] offset:1248
	v_fma_f64 v[8:9], v[85:86], s[0:1], v[45:46]
	v_fma_f64 v[13:14], v[35:36], s[4:5], v[37:38]
	;; [unrolled: 1-line block ×4, first 2 shown]
	v_add_f64 v[49:50], v[89:90], v[49:50]
	v_fma_f64 v[17:18], v[41:42], s[0:1], v[31:32]
	v_add_f64 v[47:48], v[87:88], v[47:48]
	v_fma_f64 v[21:22], v[39:40], s[4:5], v[33:34]
	v_fma_f64 v[19:20], v[41:42], s[4:5], v[31:32]
	;; [unrolled: 1-line block ×3, first 2 shown]
	ds_write_b128 v98, v[0:3] offset:16
	ds_write_b128 v98, v[4:7] offset:32
	;; [unrolled: 1-line block ×4, first 2 shown]
	ds_write2_b64 v98, v[8:9], v[13:14] offset0:158 offset1:159
	ds_write2_b64 v98, v[11:12], v[15:16] offset0:160 offset1:161
	;; [unrolled: 1-line block ×5, first 2 shown]
	v_sub_u16_e32 v8, v95, v102
	v_mul_lo_u16_e32 v9, 3, v8
	v_sub_u16_e32 v39, v96, v103
	v_lshlrev_b32_sdwa v9, v59, v9 dst_sel:DWORD dst_unused:UNUSED_PAD src0_sel:DWORD src1_sel:BYTE_0
	v_mul_u32_u24_sdwa v27, v39, v97 dst_sel:DWORD dst_unused:UNUSED_PAD src0_sel:BYTE_0 src1_sel:DWORD
	s_waitcnt lgkmcnt(0)
	s_barrier
	global_load_dwordx4 v[0:3], v105, s[12:13]
	global_load_dwordx4 v[23:26], v9, s[12:13] offset:32
	global_load_dwordx4 v[15:18], v9, s[12:13]
	global_load_dwordx4 v[19:22], v9, s[12:13] offset:16
	v_lshlrev_b32_e32 v9, 4, v27
	global_load_dwordx4 v[4:7], v105, s[12:13] offset:16
	global_load_dwordx4 v[11:14], v105, s[12:13] offset:32
	global_load_dwordx4 v[27:30], v9, s[12:13]
	global_load_dwordx4 v[31:34], v9, s[12:13] offset:16
	global_load_dwordx4 v[35:38], v9, s[12:13] offset:32
	v_mul_u32_u24_e32 v41, 12, v101
	v_or_b32_sdwa v39, v41, v39 dst_sel:DWORD dst_unused:UNUSED_PAD src0_sel:DWORD src1_sel:BYTE_0
	v_mul_lo_u16_e32 v40, 12, v100
	v_lshlrev_b32_e32 v39, 4, v39
	v_mul_lo_u16_e32 v9, 12, v99
	v_or_b32_e32 v8, v40, v8
	v_add3_u32 v111, 0, v39, v10
	ds_read_b128 v[39:42], v127 offset:624
	ds_read_b128 v[43:46], v127 offset:416
	;; [unrolled: 1-line block ×10, first 2 shown]
	ds_read_b128 v[85:88], v126
	ds_read_b128 v[89:92], v127 offset:208
	v_or_b32_e32 v9, v9, v104
	v_lshlrev_b32_sdwa v9, v59, v9 dst_sel:DWORD dst_unused:UNUSED_PAD src0_sel:DWORD src1_sel:BYTE_0
	v_lshlrev_b32_sdwa v8, v59, v8 dst_sel:DWORD dst_unused:UNUSED_PAD src0_sel:DWORD src1_sel:BYTE_0
	v_add3_u32 v109, 0, v9, v10
	v_add3_u32 v110, 0, v8, v10
	v_cmp_gt_u32_e64 s[0:1], 12, v64
	s_waitcnt vmcnt(0) lgkmcnt(0)
	s_barrier
	v_mul_f64 v[8:9], v[41:42], v[2:3]
	v_mul_f64 v[2:3], v[39:40], v[2:3]
	;; [unrolled: 1-line block ×18, first 2 shown]
	v_fma_f64 v[8:9], v[39:40], v[0:1], -v[8:9]
	v_fma_f64 v[0:1], v[41:42], v[0:1], v[2:3]
	v_fma_f64 v[2:3], v[47:48], v[4:5], -v[93:94]
	v_fma_f64 v[4:5], v[49:50], v[4:5], v[6:7]
	;; [unrolled: 2-line block ×9, first 2 shown]
	v_add_f64 v[2:3], v[85:86], -v[2:3]
	v_add_f64 v[34:35], v[87:88], -v[4:5]
	;; [unrolled: 1-line block ×12, first 2 shown]
	v_fma_f64 v[32:33], v[85:86], 2.0, -v[2:3]
	v_fma_f64 v[50:51], v[87:88], 2.0, -v[34:35]
	;; [unrolled: 1-line block ×8, first 2 shown]
	v_add_f64 v[8:9], v[36:37], -v[18:19]
	v_fma_f64 v[58:59], v[43:44], 2.0, -v[26:27]
	v_fma_f64 v[65:66], v[45:46], 2.0, -v[48:49]
	;; [unrolled: 1-line block ×4, first 2 shown]
	v_add_f64 v[12:13], v[2:3], -v[6:7]
	v_add_f64 v[14:15], v[34:35], v[4:5]
	v_add_f64 v[10:11], v[41:42], v[10:11]
	v_add_f64 v[44:45], v[26:27], -v[28:29]
	v_add_f64 v[46:47], v[48:49], v[20:21]
	v_add_f64 v[20:21], v[32:33], -v[30:31]
	v_add_f64 v[22:23], v[50:51], -v[0:1]
	;; [unrolled: 1-line block ×4, first 2 shown]
	v_fma_f64 v[28:29], v[36:37], 2.0, -v[8:9]
	v_add_f64 v[36:37], v[58:59], -v[67:68]
	v_add_f64 v[38:39], v[65:66], -v[24:25]
	v_fma_f64 v[4:5], v[2:3], 2.0, -v[12:13]
	v_fma_f64 v[6:7], v[34:35], 2.0, -v[14:15]
	;; [unrolled: 1-line block ×11, first 2 shown]
	ds_write_b128 v109, v[12:15] offset:144
	ds_write_b128 v109, v[4:7] offset:48
	;; [unrolled: 1-line block ×3, first 2 shown]
	ds_write_b128 v109, v[0:3]
	ds_write_b128 v110, v[24:27]
	ds_write_b128 v110, v[28:31] offset:48
	ds_write_b128 v110, v[16:19] offset:96
	;; [unrolled: 1-line block ×3, first 2 shown]
	ds_write_b128 v111, v[32:35]
	ds_write_b128 v111, v[40:43] offset:48
	ds_write_b128 v111, v[36:39] offset:96
	;; [unrolled: 1-line block ×3, first 2 shown]
	s_waitcnt lgkmcnt(0)
	s_barrier
	s_waitcnt lgkmcnt(0)
                                        ; implicit-def: $vgpr50_vgpr51
	s_and_saveexec_b64 s[4:5], s[0:1]
	s_cbranch_execz .LBB0_20
; %bb.19:
	ds_read_b128 v[0:3], v126
	ds_read_b128 v[4:7], v127 offset:192
	ds_read_b128 v[20:23], v127 offset:384
	;; [unrolled: 1-line block ×12, first 2 shown]
.LBB0_20:
	s_or_b64 exec, exec, s[4:5]
	s_waitcnt lgkmcnt(0)
	s_barrier
	s_and_saveexec_b64 s[4:5], s[0:1]
	s_cbranch_execz .LBB0_22
; %bb.21:
	v_add_u32_e32 v52, -12, v64
	v_cndmask_b32_e64 v52, v52, v64, s[0:1]
	v_mul_i32_i24_e32 v52, 12, v52
	v_mov_b32_e32 v53, 0
	v_lshlrev_b64 v[52:53], 4, v[52:53]
	v_mov_b32_e32 v54, s13
	v_add_co_u32_e64 v69, s[0:1], s12, v52
	v_addc_co_u32_e64 v70, s[0:1], v54, v53, s[0:1]
	global_load_dwordx4 v[56:59], v[69:70], off offset:224
	global_load_dwordx4 v[52:55], v[69:70], off offset:240
	;; [unrolled: 1-line block ×12, first 2 shown]
	s_mov_b32 s6, 0x93053d00
	s_mov_b32 s12, 0x4bc48dbf
	;; [unrolled: 1-line block ×36, first 2 shown]
	s_waitcnt vmcnt(11)
	v_mul_f64 v[69:70], v[16:17], v[58:59]
	v_mul_f64 v[128:129], v[18:19], v[58:59]
	s_waitcnt vmcnt(9)
	v_mul_f64 v[81:82], v[28:29], v[67:68]
	v_mul_f64 v[71:72], v[8:9], v[54:55]
	;; [unrolled: 3-line block ×3, first 2 shown]
	v_mul_f64 v[67:68], v[30:31], v[67:68]
	s_waitcnt vmcnt(4)
	v_mul_f64 v[115:116], v[4:5], v[95:96]
	s_waitcnt vmcnt(3)
	v_mul_f64 v[121:122], v[48:49], v[99:100]
	v_mul_f64 v[119:120], v[20:21], v[91:92]
	;; [unrolled: 1-line block ×3, first 2 shown]
	s_waitcnt vmcnt(2)
	v_mul_f64 v[123:124], v[44:45], v[103:104]
	v_mul_f64 v[99:100], v[50:51], v[99:100]
	v_fma_f64 v[58:59], v[18:19], v[56:57], v[69:70]
	v_fma_f64 v[69:70], v[30:31], v[65:66], v[81:82]
	;; [unrolled: 1-line block ×3, first 2 shown]
	v_fma_f64 v[83:84], v[24:25], v[77:78], -v[79:80]
	v_fma_f64 v[115:116], v[6:7], v[93:94], v[115:116]
	v_fma_f64 v[24:25], v[50:51], v[97:98], v[121:122]
	v_mul_f64 v[130:131], v[10:11], v[54:55]
	v_mul_f64 v[117:118], v[32:33], v[75:76]
	;; [unrolled: 1-line block ×5, first 2 shown]
	s_waitcnt vmcnt(1)
	v_mul_f64 v[134:135], v[12:13], v[109:110]
	s_waitcnt vmcnt(0)
	v_mul_f64 v[136:137], v[36:37], v[113:114]
	v_mul_f64 v[138:139], v[38:39], v[113:114]
	v_fma_f64 v[54:55], v[10:11], v[52:53], v[71:72]
	v_fma_f64 v[71:72], v[28:29], v[65:66], -v[67:68]
	v_fma_f64 v[103:104], v[22:23], v[89:90], v[119:120]
	v_fma_f64 v[113:114], v[4:5], v[93:94], -v[95:96]
	v_fma_f64 v[28:29], v[46:47], v[101:102], v[123:124]
	v_fma_f64 v[26:27], v[48:49], v[97:98], -v[99:100]
	v_add_f64 v[123:124], v[115:116], v[24:25]
	v_add_f64 v[121:122], v[115:116], -v[24:25]
	v_mul_f64 v[75:76], v[34:35], v[75:76]
	v_mul_f64 v[87:88], v[42:43], v[87:88]
	v_mul_f64 v[109:110], v[14:15], v[109:110]
	v_fma_f64 v[42:43], v[42:43], v[85:86], v[105:106]
	v_fma_f64 v[105:106], v[20:21], v[89:90], -v[91:92]
	v_fma_f64 v[30:31], v[44:45], v[101:102], -v[132:133]
	v_fma_f64 v[95:96], v[14:15], v[107:108], v[134:135]
	v_fma_f64 v[38:39], v[38:39], v[111:112], v[136:137]
	v_fma_f64 v[36:37], v[36:37], v[111:112], -v[138:139]
	v_fma_f64 v[34:35], v[34:35], v[73:74], v[117:118]
	v_add_f64 v[111:112], v[103:104], v[28:29]
	v_add_f64 v[119:120], v[113:114], -v[26:27]
	v_add_f64 v[117:118], v[113:114], v[26:27]
	v_add_f64 v[89:90], v[103:104], -v[28:29]
	v_mul_f64 v[4:5], v[123:124], s[6:7]
	v_mul_f64 v[6:7], v[121:122], s[14:15]
	v_fma_f64 v[40:41], v[40:41], v[85:86], -v[87:88]
	v_fma_f64 v[97:98], v[12:13], v[107:108], -v[109:110]
	v_add_f64 v[77:78], v[105:106], -v[30:31]
	v_add_f64 v[50:51], v[105:106], v[30:31]
	v_add_f64 v[107:108], v[95:96], v[38:39]
	v_add_f64 v[85:86], v[95:96], -v[38:39]
	v_mul_f64 v[10:11], v[111:112], s[0:1]
	v_mul_f64 v[12:13], v[89:90], s[18:19]
	v_fma_f64 v[14:15], v[119:120], s[12:13], v[4:5]
	v_fma_f64 v[18:19], v[117:118], s[6:7], v[6:7]
	v_fma_f64 v[32:33], v[32:33], v[73:74], -v[75:76]
	v_add_f64 v[73:74], v[97:98], -v[36:37]
	v_add_f64 v[48:49], v[97:98], v[36:37]
	v_add_f64 v[101:102], v[81:82], v[42:43]
	v_add_f64 v[79:80], v[81:82], -v[42:43]
	v_mul_f64 v[20:21], v[107:108], s[16:17]
	v_mul_f64 v[22:23], v[85:86], s[20:21]
	v_fma_f64 v[46:47], v[77:78], s[8:9], v[10:11]
	v_fma_f64 v[75:76], v[50:51], s[0:1], v[12:13]
	v_add_f64 v[14:15], v[2:3], v[14:15]
	v_add_f64 v[18:19], v[0:1], v[18:19]
	v_add_f64 v[65:66], v[83:84], -v[40:41]
	v_add_f64 v[44:45], v[83:84], v[40:41]
	v_add_f64 v[91:92], v[69:70], v[34:35]
	v_add_f64 v[67:68], v[69:70], -v[34:35]
	v_mul_f64 v[132:133], v[101:102], s[24:25]
	v_mul_f64 v[134:135], v[79:80], s[28:29]
	v_fma_f64 v[87:88], v[73:74], s[22:23], v[20:21]
	v_fma_f64 v[93:94], v[48:49], s[16:17], v[22:23]
	v_add_f64 v[14:15], v[46:47], v[14:15]
	v_add_f64 v[18:19], v[75:76], v[18:19]
	v_add_f64 v[75:76], v[71:72], -v[32:33]
	v_add_f64 v[46:47], v[71:72], v[32:33]
	v_mul_f64 v[136:137], v[91:92], s[30:31]
	v_mul_f64 v[138:139], v[67:68], s[34:35]
	v_fma_f64 v[109:110], v[65:66], s[26:27], v[132:133]
	v_fma_f64 v[140:141], v[44:45], s[24:25], v[134:135]
	v_add_f64 v[14:15], v[87:88], v[14:15]
	v_add_f64 v[18:19], v[93:94], v[18:19]
	v_fma_f64 v[99:100], v[16:17], v[56:57], -v[128:129]
	v_fma_f64 v[87:88], v[8:9], v[52:53], -v[130:131]
	v_add_f64 v[52:53], v[58:59], v[54:55]
	v_fma_f64 v[8:9], v[75:76], s[36:37], v[136:137]
	v_fma_f64 v[16:17], v[46:47], s[30:31], v[138:139]
	;; [unrolled: 1-line block ×3, first 2 shown]
	v_add_f64 v[14:15], v[109:110], v[14:15]
	v_add_f64 v[18:19], v[140:141], v[18:19]
	v_fma_f64 v[10:11], v[77:78], s[18:19], v[10:11]
	v_add_f64 v[56:57], v[99:100], -v[87:88]
	v_mul_f64 v[128:129], v[52:53], s[38:39]
	v_mul_f64 v[130:131], v[123:124], s[16:17]
	v_add_f64 v[93:94], v[58:59], -v[54:55]
	v_add_f64 v[4:5], v[2:3], v[4:5]
	v_add_f64 v[8:9], v[8:9], v[14:15]
	;; [unrolled: 1-line block ×3, first 2 shown]
	v_fma_f64 v[18:19], v[117:118], s[6:7], -v[6:7]
	v_add_f64 v[109:110], v[99:100], v[87:88]
	v_fma_f64 v[16:17], v[56:57], s[40:41], v[128:129]
	v_mul_f64 v[142:143], v[107:108], s[24:25]
	v_mul_f64 v[144:145], v[89:90], s[42:43]
	v_add_f64 v[4:5], v[10:11], v[4:5]
	v_fma_f64 v[10:11], v[73:74], s[20:21], v[20:21]
	v_mul_f64 v[20:21], v[111:112], s[38:39]
	v_mul_f64 v[150:151], v[85:86], s[26:27]
	v_fma_f64 v[128:129], v[56:57], s[42:43], v[128:129]
	v_add_f64 v[6:7], v[16:17], v[8:9]
	v_fma_f64 v[8:9], v[50:51], s[0:1], -v[12:13]
	v_add_f64 v[12:13], v[0:1], v[18:19]
	v_fma_f64 v[18:19], v[119:120], s[22:23], v[130:131]
	v_mul_f64 v[16:17], v[93:94], s[42:43]
	v_add_f64 v[4:5], v[10:11], v[4:5]
	v_fma_f64 v[10:11], v[65:66], s[28:29], v[132:133]
	v_mul_f64 v[132:133], v[121:122], s[20:21]
	v_fma_f64 v[140:141], v[77:78], s[40:41], v[20:21]
	v_fma_f64 v[148:149], v[50:51], s[38:39], v[144:145]
	v_add_f64 v[8:9], v[8:9], v[12:13]
	v_fma_f64 v[12:13], v[48:49], s[16:17], -v[22:23]
	v_add_f64 v[18:19], v[2:3], v[18:19]
	v_fma_f64 v[22:23], v[109:110], s[38:39], v[16:17]
	v_add_f64 v[10:11], v[10:11], v[4:5]
	v_fma_f64 v[4:5], v[117:118], s[16:17], v[132:133]
	v_fma_f64 v[132:133], v[117:118], s[16:17], -v[132:133]
	v_fma_f64 v[20:21], v[77:78], s[42:43], v[20:21]
	v_fma_f64 v[16:17], v[109:110], s[38:39], -v[16:17]
	v_add_f64 v[8:9], v[12:13], v[8:9]
	v_fma_f64 v[12:13], v[44:45], s[24:25], -v[134:135]
	v_fma_f64 v[134:135], v[75:76], s[34:35], v[136:137]
	v_add_f64 v[18:19], v[140:141], v[18:19]
	v_fma_f64 v[136:137], v[73:74], s[28:29], v[142:143]
	v_mul_f64 v[140:141], v[101:102], s[6:7]
	v_add_f64 v[146:147], v[0:1], v[4:5]
	v_add_f64 v[4:5], v[22:23], v[14:15]
	;; [unrolled: 1-line block ×4, first 2 shown]
	v_fma_f64 v[12:13], v[46:47], s[30:31], -v[138:139]
	v_add_f64 v[10:11], v[134:135], v[10:11]
	v_add_f64 v[14:15], v[136:137], v[18:19]
	v_fma_f64 v[18:19], v[65:66], s[14:15], v[140:141]
	v_add_f64 v[22:23], v[148:149], v[146:147]
	v_fma_f64 v[134:135], v[48:49], s[24:25], v[150:151]
	v_mul_f64 v[136:137], v[79:80], s[12:13]
	v_mul_f64 v[146:147], v[52:53], s[30:31]
	v_add_f64 v[8:9], v[12:13], v[8:9]
	v_mul_f64 v[12:13], v[91:92], s[0:1]
	v_add_f64 v[10:11], v[128:129], v[10:11]
	v_add_f64 v[14:15], v[18:19], v[14:15]
	v_fma_f64 v[18:19], v[119:120], s[20:21], v[130:131]
	v_add_f64 v[22:23], v[134:135], v[22:23]
	v_fma_f64 v[130:131], v[44:45], s[6:7], v[136:137]
	v_mul_f64 v[134:135], v[67:68], s[18:19]
	v_add_f64 v[8:9], v[16:17], v[8:9]
	v_fma_f64 v[138:139], v[75:76], s[8:9], v[12:13]
	v_mul_f64 v[148:149], v[107:108], s[0:1]
	v_fma_f64 v[12:13], v[75:76], s[18:19], v[12:13]
	v_add_f64 v[18:19], v[2:3], v[18:19]
	v_mul_f64 v[152:153], v[101:102], s[38:39]
	v_add_f64 v[22:23], v[130:131], v[22:23]
	v_fma_f64 v[128:129], v[46:47], s[0:1], v[134:135]
	v_fma_f64 v[130:131], v[50:51], s[38:39], -v[144:145]
	v_add_f64 v[14:15], v[138:139], v[14:15]
	v_fma_f64 v[138:139], v[56:57], s[36:37], v[146:147]
	v_mul_f64 v[144:145], v[89:90], s[22:23]
	v_add_f64 v[18:19], v[20:21], v[18:19]
	v_fma_f64 v[20:21], v[73:74], s[26:27], v[142:143]
	v_mul_f64 v[142:143], v[123:124], s[30:31]
	v_add_f64 v[16:17], v[128:129], v[22:23]
	v_add_f64 v[22:23], v[130:131], v[132:133]
	v_fma_f64 v[128:129], v[48:49], s[24:25], -v[150:151]
	v_add_f64 v[14:15], v[138:139], v[14:15]
	v_mul_f64 v[130:131], v[121:122], s[34:35]
	v_mul_f64 v[138:139], v[111:112], s[16:17]
	v_add_f64 v[18:19], v[20:21], v[18:19]
	v_fma_f64 v[20:21], v[65:66], s[12:13], v[140:141]
	v_fma_f64 v[132:133], v[119:120], s[36:37], v[142:143]
	v_mul_f64 v[140:141], v[93:94], s[34:35]
	v_add_f64 v[22:23], v[128:129], v[22:23]
	v_fma_f64 v[128:129], v[44:45], s[6:7], -v[136:137]
	v_fma_f64 v[136:137], v[117:118], s[30:31], v[130:131]
	v_mul_f64 v[150:151], v[85:86], s[18:19]
	v_fma_f64 v[134:135], v[46:47], s[0:1], -v[134:135]
	v_add_f64 v[18:19], v[20:21], v[18:19]
	v_add_f64 v[20:21], v[2:3], v[132:133]
	v_fma_f64 v[132:133], v[77:78], s[20:21], v[138:139]
	v_fma_f64 v[154:155], v[109:110], s[30:31], v[140:141]
	v_add_f64 v[22:23], v[128:129], v[22:23]
	v_add_f64 v[128:129], v[0:1], v[136:137]
	v_fma_f64 v[136:137], v[50:51], s[16:17], v[144:145]
	v_fma_f64 v[140:141], v[109:110], s[30:31], -v[140:141]
	v_add_f64 v[18:19], v[12:13], v[18:19]
	v_fma_f64 v[138:139], v[77:78], s[22:23], v[138:139]
	v_add_f64 v[20:21], v[132:133], v[20:21]
	v_fma_f64 v[132:133], v[73:74], s[8:9], v[148:149]
	v_add_f64 v[22:23], v[134:135], v[22:23]
	v_mul_f64 v[134:135], v[91:92], s[6:7]
	v_add_f64 v[12:13], v[136:137], v[128:129]
	v_fma_f64 v[128:129], v[48:49], s[0:1], v[150:151]
	v_fma_f64 v[130:131], v[117:118], s[30:31], -v[130:131]
	v_mul_f64 v[162:163], v[111:112], s[6:7]
	v_mul_f64 v[164:165], v[89:90], s[14:15]
	v_add_f64 v[20:21], v[132:133], v[20:21]
	v_fma_f64 v[132:133], v[65:66], s[42:43], v[152:153]
	v_fma_f64 v[144:145], v[50:51], s[16:17], -v[144:145]
	v_mul_f64 v[136:137], v[79:80], s[40:41]
	v_add_f64 v[128:129], v[128:129], v[12:13]
	v_add_f64 v[12:13], v[154:155], v[16:17]
	v_add_f64 v[16:17], v[140:141], v[22:23]
	v_fma_f64 v[22:23], v[119:120], s[34:35], v[142:143]
	v_mul_f64 v[154:155], v[121:122], s[40:41]
	v_add_f64 v[20:21], v[132:133], v[20:21]
	v_fma_f64 v[132:133], v[75:76], s[14:15], v[134:135]
	v_add_f64 v[130:131], v[0:1], v[130:131]
	v_fma_f64 v[148:149], v[73:74], s[18:19], v[148:149]
	v_fma_f64 v[166:167], v[77:78], s[12:13], v[162:163]
	v_mul_f64 v[168:169], v[107:108], s[30:31]
	v_add_f64 v[22:23], v[2:3], v[22:23]
	v_fma_f64 v[170:171], v[50:51], s[6:7], v[164:165]
	v_mul_f64 v[172:173], v[85:86], s[36:37]
	v_add_f64 v[20:21], v[132:133], v[20:21]
	v_mul_f64 v[132:133], v[123:124], s[38:39]
	v_add_f64 v[130:131], v[144:145], v[130:131]
	v_fma_f64 v[144:145], v[48:49], s[0:1], -v[150:151]
	v_fma_f64 v[146:147], v[56:57], s[34:35], v[146:147]
	v_add_f64 v[22:23], v[138:139], v[22:23]
	v_fma_f64 v[138:139], v[117:118], s[38:39], v[154:155]
	v_fma_f64 v[156:157], v[44:45], s[38:39], v[136:137]
	v_mul_f64 v[158:159], v[67:68], s[12:13]
	v_fma_f64 v[160:161], v[119:120], s[42:43], v[132:133]
	v_fma_f64 v[150:151], v[73:74], s[34:35], v[168:169]
	;; [unrolled: 1-line block ×3, first 2 shown]
	v_add_f64 v[130:131], v[144:145], v[130:131]
	v_add_f64 v[22:23], v[148:149], v[22:23]
	;; [unrolled: 1-line block ×3, first 2 shown]
	v_fma_f64 v[136:137], v[44:45], s[38:39], -v[136:137]
	v_add_f64 v[18:19], v[146:147], v[18:19]
	v_add_f64 v[160:161], v[2:3], v[160:161]
	;; [unrolled: 1-line block ×3, first 2 shown]
	v_fma_f64 v[140:141], v[46:47], s[6:7], v[158:159]
	v_mul_f64 v[142:143], v[52:53], s[24:25]
	v_mul_f64 v[146:147], v[93:94], s[28:29]
	v_add_f64 v[138:139], v[170:171], v[138:139]
	v_mul_f64 v[170:171], v[79:80], s[18:19]
	v_add_f64 v[22:23], v[152:153], v[22:23]
	v_add_f64 v[148:149], v[166:167], v[160:161]
	v_mul_f64 v[160:161], v[101:102], s[0:1]
	v_fma_f64 v[166:167], v[48:49], s[30:31], v[172:173]
	v_mul_f64 v[152:153], v[67:68], s[26:27]
	v_add_f64 v[130:131], v[136:137], v[130:131]
	v_fma_f64 v[136:137], v[46:47], s[6:7], -v[158:159]
	v_add_f64 v[128:129], v[140:141], v[128:129]
	v_fma_f64 v[140:141], v[56:57], s[26:27], v[142:143]
	v_add_f64 v[144:145], v[150:151], v[148:149]
	v_fma_f64 v[148:149], v[65:66], s[8:9], v[160:161]
	v_mul_f64 v[150:151], v[91:92], s[24:25]
	v_add_f64 v[138:139], v[166:167], v[138:139]
	v_fma_f64 v[166:167], v[44:45], s[0:1], v[170:171]
	v_fma_f64 v[156:157], v[109:110], s[24:25], v[146:147]
	;; [unrolled: 1-line block ×3, first 2 shown]
	v_mul_f64 v[158:159], v[52:53], s[16:17]
	v_mul_f64 v[174:175], v[93:94], s[20:21]
	v_add_f64 v[144:145], v[148:149], v[144:145]
	v_fma_f64 v[148:149], v[75:76], s[28:29], v[150:151]
	v_add_f64 v[136:137], v[136:137], v[130:131]
	v_add_f64 v[138:139], v[166:167], v[138:139]
	v_fma_f64 v[166:167], v[46:47], s[24:25], v[152:153]
	v_fma_f64 v[130:131], v[56:57], s[28:29], v[142:143]
	v_fma_f64 v[142:143], v[109:110], s[24:25], -v[146:147]
	v_add_f64 v[134:135], v[134:135], v[22:23]
	v_fma_f64 v[146:147], v[56:57], s[22:23], v[158:159]
	v_add_f64 v[144:145], v[148:149], v[144:145]
	v_fma_f64 v[148:149], v[109:110], s[16:17], v[174:175]
	v_add_f64 v[22:23], v[140:141], v[20:21]
	v_add_f64 v[138:139], v[166:167], v[138:139]
	v_mul_f64 v[140:141], v[123:124], s[24:25]
	v_add_f64 v[20:21], v[156:157], v[128:129]
	v_add_f64 v[128:129], v[142:143], v[136:137]
	v_fma_f64 v[136:137], v[119:120], s[40:41], v[132:133]
	v_mul_f64 v[123:124], v[123:124], s[0:1]
	v_mul_f64 v[142:143], v[121:122], s[26:27]
	;; [unrolled: 1-line block ×3, first 2 shown]
	v_add_f64 v[130:131], v[130:131], v[134:135]
	v_add_f64 v[134:135], v[146:147], v[144:145]
	v_add_f64 v[132:133], v[148:149], v[138:139]
	v_fma_f64 v[138:139], v[119:120], s[28:29], v[140:141]
	v_fma_f64 v[140:141], v[119:120], s[26:27], v[140:141]
	v_fma_f64 v[144:145], v[117:118], s[38:39], -v[154:155]
	v_add_f64 v[136:137], v[2:3], v[136:137]
	v_fma_f64 v[146:147], v[77:78], s[14:15], v[162:163]
	v_fma_f64 v[148:149], v[119:120], s[18:19], v[123:124]
	;; [unrolled: 1-line block ×4, first 2 shown]
	v_fma_f64 v[142:143], v[117:118], s[24:25], -v[142:143]
	v_fma_f64 v[154:155], v[117:118], s[0:1], v[121:122]
	v_fma_f64 v[117:118], v[117:118], s[0:1], -v[121:122]
	v_add_f64 v[121:122], v[0:1], v[144:145]
	v_add_f64 v[136:137], v[146:147], v[136:137]
	;; [unrolled: 1-line block ×12, first 2 shown]
	v_fma_f64 v[144:145], v[73:74], s[36:37], v[168:169]
	v_fma_f64 v[154:155], v[50:51], s[6:7], -v[164:165]
	v_mul_f64 v[156:157], v[111:112], s[30:31]
	v_mul_f64 v[115:116], v[89:90], s[34:35]
	;; [unrolled: 1-line block ×4, first 2 shown]
	v_add_f64 v[2:3], v[2:3], v[103:104]
	v_add_f64 v[0:1], v[0:1], v[105:106]
	;; [unrolled: 1-line block ×3, first 2 shown]
	v_fma_f64 v[144:145], v[65:66], s[18:19], v[160:161]
	v_add_f64 v[121:122], v[154:155], v[121:122]
	v_fma_f64 v[154:155], v[48:49], s[30:31], -v[172:173]
	v_mul_f64 v[160:161], v[107:108], s[6:7]
	v_fma_f64 v[113:114], v[50:51], s[30:31], v[115:116]
	v_add_f64 v[2:3], v[2:3], v[95:96]
	v_add_f64 v[0:1], v[0:1], v[97:98]
	v_fma_f64 v[115:116], v[50:51], s[30:31], -v[115:116]
	v_add_f64 v[136:137], v[144:145], v[136:137]
	v_fma_f64 v[144:145], v[75:76], s[26:27], v[150:151]
	v_fma_f64 v[150:151], v[77:78], s[36:37], v[156:157]
	v_add_f64 v[121:122], v[154:155], v[121:122]
	v_fma_f64 v[154:155], v[44:45], s[0:1], -v[170:171]
	v_add_f64 v[2:3], v[2:3], v[81:82]
	v_add_f64 v[0:1], v[0:1], v[83:84]
	v_mul_f64 v[81:82], v[89:90], s[26:27]
	v_mul_f64 v[164:165], v[79:80], s[22:23]
	v_add_f64 v[136:137], v[144:145], v[136:137]
	v_add_f64 v[138:139], v[150:151], v[138:139]
	v_fma_f64 v[144:145], v[73:74], s[12:13], v[160:161]
	v_mul_f64 v[150:151], v[101:102], s[16:17]
	v_add_f64 v[2:3], v[2:3], v[69:70]
	v_add_f64 v[0:1], v[0:1], v[71:72]
	v_add_f64 v[121:122], v[154:155], v[121:122]
	v_fma_f64 v[154:155], v[77:78], s[34:35], v[156:157]
	v_mul_f64 v[156:157], v[91:92], s[38:39]
	v_fma_f64 v[69:70], v[50:51], s[24:25], v[81:82]
	v_add_f64 v[138:139], v[144:145], v[138:139]
	v_fma_f64 v[144:145], v[65:66], s[20:21], v[150:151]
	v_mul_f64 v[71:72], v[85:86], s[40:41]
	v_add_f64 v[2:3], v[2:3], v[58:59]
	v_add_f64 v[0:1], v[0:1], v[99:100]
	v_mul_f64 v[79:80], v[79:80], s[34:35]
	v_fma_f64 v[50:51], v[50:51], s[24:25], -v[81:82]
	v_add_f64 v[58:59], v[69:70], v[148:149]
	v_add_f64 v[115:116], v[115:116], v[142:143]
	;; [unrolled: 1-line block ×3, first 2 shown]
	v_fma_f64 v[144:145], v[75:76], s[40:41], v[156:157]
	v_fma_f64 v[69:70], v[48:49], s[38:39], v[71:72]
	v_add_f64 v[2:3], v[2:3], v[54:55]
	v_add_f64 v[0:1], v[0:1], v[87:88]
	v_fma_f64 v[103:104], v[48:49], s[6:7], -v[162:163]
	v_mul_f64 v[107:108], v[107:108], s[38:39]
	v_add_f64 v[113:114], v[113:114], v[123:124]
	v_fma_f64 v[123:124], v[48:49], s[6:7], v[162:163]
	v_add_f64 v[105:106], v[144:145], v[138:139]
	v_fma_f64 v[138:139], v[77:78], s[28:29], v[111:112]
	v_fma_f64 v[77:78], v[77:78], s[26:27], v[111:112]
	v_add_f64 v[54:55], v[69:70], v[58:59]
	v_fma_f64 v[58:59], v[44:45], s[30:31], v[79:80]
	v_fma_f64 v[48:49], v[48:49], s[38:39], -v[71:72]
	v_add_f64 v[50:51], v[50:51], v[117:118]
	v_add_f64 v[2:3], v[2:3], v[34:35]
	;; [unrolled: 1-line block ×4, first 2 shown]
	v_fma_f64 v[154:155], v[73:74], s[14:15], v[160:161]
	v_add_f64 v[95:96], v[103:104], v[115:116]
	v_fma_f64 v[97:98], v[44:45], s[16:17], -v[164:165]
	v_fma_f64 v[115:116], v[73:74], s[42:43], v[107:108]
	v_mul_f64 v[101:102], v[101:102], s[30:31]
	v_fma_f64 v[73:74], v[73:74], s[40:41], v[107:108]
	v_add_f64 v[77:78], v[77:78], v[119:120]
	v_add_f64 v[113:114], v[123:124], v[113:114]
	v_fma_f64 v[123:124], v[44:45], s[16:17], v[164:165]
	v_mul_f64 v[166:167], v[67:68], s[42:43]
	v_add_f64 v[103:104], v[138:139], v[146:147]
	v_add_f64 v[34:35], v[58:59], v[54:55]
	v_mul_f64 v[54:55], v[67:68], s[20:21]
	v_fma_f64 v[44:45], v[44:45], s[30:31], -v[79:80]
	v_add_f64 v[48:49], v[48:49], v[50:51]
	v_add_f64 v[2:3], v[2:3], v[42:43]
	;; [unrolled: 1-line block ×3, first 2 shown]
	v_fma_f64 v[150:151], v[65:66], s[22:23], v[150:151]
	v_add_f64 v[83:84], v[97:98], v[95:96]
	v_fma_f64 v[97:98], v[65:66], s[36:37], v[101:102]
	v_mul_f64 v[85:86], v[91:92], s[16:17]
	v_fma_f64 v[65:66], v[65:66], s[34:35], v[101:102]
	v_add_f64 v[32:33], v[73:74], v[77:78]
	v_add_f64 v[113:114], v[123:124], v[113:114]
	v_fma_f64 v[123:124], v[46:47], s[38:39], v[166:167]
	v_add_f64 v[140:141], v[154:155], v[140:141]
	v_fma_f64 v[152:153], v[46:47], s[24:25], -v[152:153]
	v_fma_f64 v[89:90], v[46:47], s[38:39], -v[166:167]
	v_add_f64 v[95:96], v[115:116], v[103:104]
	v_fma_f64 v[42:43], v[46:47], s[16:17], v[54:55]
	v_fma_f64 v[46:47], v[46:47], s[16:17], -v[54:55]
	v_add_f64 v[44:45], v[44:45], v[48:49]
	v_add_f64 v[2:3], v[2:3], v[38:39]
	;; [unrolled: 1-line block ×3, first 2 shown]
	v_fma_f64 v[58:59], v[75:76], s[20:21], v[85:86]
	v_add_f64 v[32:33], v[65:66], v[32:33]
	v_mul_f64 v[50:51], v[52:53], s[6:7]
	v_mul_f64 v[54:55], v[93:94], s[14:15]
	v_add_f64 v[113:114], v[123:124], v[113:114]
	v_add_f64 v[123:124], v[150:151], v[140:141]
	v_fma_f64 v[138:139], v[75:76], s[42:43], v[156:157]
	v_mul_f64 v[40:41], v[52:53], s[0:1]
	v_mul_f64 v[52:53], v[93:94], s[18:19]
	v_add_f64 v[83:84], v[89:90], v[83:84]
	v_add_f64 v[89:90], v[97:98], v[95:96]
	v_fma_f64 v[91:92], v[75:76], s[22:23], v[85:86]
	v_fma_f64 v[36:37], v[56:57], s[20:21], v[158:159]
	v_add_f64 v[44:45], v[46:47], v[44:45]
	v_add_f64 v[46:47], v[2:3], v[28:29]
	v_add_f64 v[0:1], v[0:1], v[30:31]
	v_fma_f64 v[48:49], v[56:57], s[12:13], v[50:51]
	v_fma_f64 v[50:51], v[56:57], s[14:15], v[50:51]
	v_add_f64 v[32:33], v[58:59], v[32:33]
	v_fma_f64 v[30:31], v[109:110], s[6:7], -v[54:55]
	v_add_f64 v[103:104], v[138:139], v[123:124]
	v_fma_f64 v[38:39], v[56:57], s[8:9], v[40:41]
	v_fma_f64 v[40:41], v[56:57], s[18:19], v[40:41]
	;; [unrolled: 1-line block ×3, first 2 shown]
	v_fma_f64 v[52:53], v[109:110], s[0:1], -v[52:53]
	v_add_f64 v[121:122], v[152:153], v[121:122]
	v_fma_f64 v[56:57], v[109:110], s[16:17], -v[174:175]
	v_add_f64 v[69:70], v[91:92], v[89:90]
	v_fma_f64 v[54:55], v[109:110], s[6:7], v[54:55]
	v_add_f64 v[42:43], v[42:43], v[34:35]
	v_add_f64 v[2:3], v[36:37], v[136:137]
	;; [unrolled: 1-line block ×13, first 2 shown]
	ds_write_b128 v126, v[34:37]
	ds_write_b128 v127, v[30:33] offset:192
	ds_write_b128 v127, v[26:29] offset:384
	;; [unrolled: 1-line block ×12, first 2 shown]
.LBB0_22:
	s_or_b64 exec, exec, s[4:5]
	s_waitcnt lgkmcnt(0)
	s_barrier
	s_and_saveexec_b64 s[0:1], vcc
	s_cbranch_execz .LBB0_24
; %bb.23:
	v_mul_lo_u32 v0, s3, v62
	v_mul_lo_u32 v1, s2, v63
	v_mad_u64_u32 v[4:5], s[0:1], s2, v62, 0
	v_mov_b32_e32 v6, s11
	v_lshl_add_u32 v10, v64, 4, v125
	v_add3_u32 v5, v5, v1, v0
	v_lshlrev_b64 v[4:5], 4, v[4:5]
	v_mov_b32_e32 v65, 0
	v_add_co_u32_e32 v7, vcc, s10, v4
	v_addc_co_u32_e32 v6, vcc, v6, v5, vcc
	v_lshlrev_b64 v[4:5], 4, v[60:61]
	ds_read_b128 v[0:3], v10
	v_add_co_u32_e32 v11, vcc, v7, v4
	v_addc_co_u32_e32 v12, vcc, v6, v5, vcc
	v_lshlrev_b64 v[4:5], 4, v[64:65]
	v_add_co_u32_e32 v8, vcc, v11, v4
	v_addc_co_u32_e32 v9, vcc, v12, v5, vcc
	ds_read_b128 v[4:7], v10 offset:208
	s_waitcnt lgkmcnt(1)
	global_store_dwordx4 v[8:9], v[0:3], off
	s_nop 0
	v_add_u32_e32 v0, 13, v64
	v_mov_b32_e32 v1, v65
	v_lshlrev_b64 v[0:1], 4, v[0:1]
	v_add_co_u32_e32 v0, vcc, v11, v0
	v_addc_co_u32_e32 v1, vcc, v12, v1, vcc
	s_waitcnt lgkmcnt(0)
	global_store_dwordx4 v[0:1], v[4:7], off
	ds_read_b128 v[0:3], v10 offset:416
	v_add_u32_e32 v4, 26, v64
	v_mov_b32_e32 v5, v65
	v_lshlrev_b64 v[4:5], 4, v[4:5]
	v_add_co_u32_e32 v8, vcc, v11, v4
	v_addc_co_u32_e32 v9, vcc, v12, v5, vcc
	ds_read_b128 v[4:7], v10 offset:624
	s_waitcnt lgkmcnt(1)
	global_store_dwordx4 v[8:9], v[0:3], off
	s_nop 0
	v_add_u32_e32 v0, 39, v64
	v_mov_b32_e32 v1, v65
	v_lshlrev_b64 v[0:1], 4, v[0:1]
	v_add_co_u32_e32 v0, vcc, v11, v0
	v_addc_co_u32_e32 v1, vcc, v12, v1, vcc
	s_waitcnt lgkmcnt(0)
	global_store_dwordx4 v[0:1], v[4:7], off
	ds_read_b128 v[0:3], v10 offset:832
	v_add_u32_e32 v4, 52, v64
	v_mov_b32_e32 v5, v65
	;; [unrolled: 17-line block ×5, first 2 shown]
	v_lshlrev_b64 v[4:5], 4, v[4:5]
	v_add_u32_e32 v64, 0x8f, v64
	v_add_co_u32_e32 v8, vcc, v11, v4
	v_addc_co_u32_e32 v9, vcc, v12, v5, vcc
	ds_read_b128 v[4:7], v10 offset:2288
	s_waitcnt lgkmcnt(1)
	global_store_dwordx4 v[8:9], v[0:3], off
	s_nop 0
	v_lshlrev_b64 v[0:1], 4, v[64:65]
	v_add_co_u32_e32 v0, vcc, v11, v0
	v_addc_co_u32_e32 v1, vcc, v12, v1, vcc
	s_waitcnt lgkmcnt(0)
	global_store_dwordx4 v[0:1], v[4:7], off
.LBB0_24:
	s_endpgm
	.section	.rodata,"a",@progbits
	.p2align	6, 0x0
	.amdhsa_kernel fft_rtc_fwd_len156_factors_3_4_13_wgs_117_tpt_13_dp_op_CI_CI_unitstride_sbrr_C2R_dirReg
		.amdhsa_group_segment_fixed_size 0
		.amdhsa_private_segment_fixed_size 0
		.amdhsa_kernarg_size 104
		.amdhsa_user_sgpr_count 6
		.amdhsa_user_sgpr_private_segment_buffer 1
		.amdhsa_user_sgpr_dispatch_ptr 0
		.amdhsa_user_sgpr_queue_ptr 0
		.amdhsa_user_sgpr_kernarg_segment_ptr 1
		.amdhsa_user_sgpr_dispatch_id 0
		.amdhsa_user_sgpr_flat_scratch_init 0
		.amdhsa_user_sgpr_private_segment_size 0
		.amdhsa_uses_dynamic_stack 0
		.amdhsa_system_sgpr_private_segment_wavefront_offset 0
		.amdhsa_system_sgpr_workgroup_id_x 1
		.amdhsa_system_sgpr_workgroup_id_y 0
		.amdhsa_system_sgpr_workgroup_id_z 0
		.amdhsa_system_sgpr_workgroup_info 0
		.amdhsa_system_vgpr_workitem_id 0
		.amdhsa_next_free_vgpr 176
		.amdhsa_next_free_sgpr 44
		.amdhsa_reserve_vcc 1
		.amdhsa_reserve_flat_scratch 0
		.amdhsa_float_round_mode_32 0
		.amdhsa_float_round_mode_16_64 0
		.amdhsa_float_denorm_mode_32 3
		.amdhsa_float_denorm_mode_16_64 3
		.amdhsa_dx10_clamp 1
		.amdhsa_ieee_mode 1
		.amdhsa_fp16_overflow 0
		.amdhsa_exception_fp_ieee_invalid_op 0
		.amdhsa_exception_fp_denorm_src 0
		.amdhsa_exception_fp_ieee_div_zero 0
		.amdhsa_exception_fp_ieee_overflow 0
		.amdhsa_exception_fp_ieee_underflow 0
		.amdhsa_exception_fp_ieee_inexact 0
		.amdhsa_exception_int_div_zero 0
	.end_amdhsa_kernel
	.text
.Lfunc_end0:
	.size	fft_rtc_fwd_len156_factors_3_4_13_wgs_117_tpt_13_dp_op_CI_CI_unitstride_sbrr_C2R_dirReg, .Lfunc_end0-fft_rtc_fwd_len156_factors_3_4_13_wgs_117_tpt_13_dp_op_CI_CI_unitstride_sbrr_C2R_dirReg
                                        ; -- End function
	.section	.AMDGPU.csdata,"",@progbits
; Kernel info:
; codeLenInByte = 9636
; NumSgprs: 48
; NumVgprs: 176
; ScratchSize: 0
; MemoryBound: 0
; FloatMode: 240
; IeeeMode: 1
; LDSByteSize: 0 bytes/workgroup (compile time only)
; SGPRBlocks: 5
; VGPRBlocks: 43
; NumSGPRsForWavesPerEU: 48
; NumVGPRsForWavesPerEU: 176
; Occupancy: 1
; WaveLimiterHint : 1
; COMPUTE_PGM_RSRC2:SCRATCH_EN: 0
; COMPUTE_PGM_RSRC2:USER_SGPR: 6
; COMPUTE_PGM_RSRC2:TRAP_HANDLER: 0
; COMPUTE_PGM_RSRC2:TGID_X_EN: 1
; COMPUTE_PGM_RSRC2:TGID_Y_EN: 0
; COMPUTE_PGM_RSRC2:TGID_Z_EN: 0
; COMPUTE_PGM_RSRC2:TIDIG_COMP_CNT: 0
	.type	__hip_cuid_f44d1231aeba97b9,@object ; @__hip_cuid_f44d1231aeba97b9
	.section	.bss,"aw",@nobits
	.globl	__hip_cuid_f44d1231aeba97b9
__hip_cuid_f44d1231aeba97b9:
	.byte	0                               ; 0x0
	.size	__hip_cuid_f44d1231aeba97b9, 1

	.ident	"AMD clang version 19.0.0git (https://github.com/RadeonOpenCompute/llvm-project roc-6.4.0 25133 c7fe45cf4b819c5991fe208aaa96edf142730f1d)"
	.section	".note.GNU-stack","",@progbits
	.addrsig
	.addrsig_sym __hip_cuid_f44d1231aeba97b9
	.amdgpu_metadata
---
amdhsa.kernels:
  - .args:
      - .actual_access:  read_only
        .address_space:  global
        .offset:         0
        .size:           8
        .value_kind:     global_buffer
      - .offset:         8
        .size:           8
        .value_kind:     by_value
      - .actual_access:  read_only
        .address_space:  global
        .offset:         16
        .size:           8
        .value_kind:     global_buffer
      - .actual_access:  read_only
        .address_space:  global
        .offset:         24
        .size:           8
        .value_kind:     global_buffer
      - .actual_access:  read_only
        .address_space:  global
        .offset:         32
        .size:           8
        .value_kind:     global_buffer
      - .offset:         40
        .size:           8
        .value_kind:     by_value
      - .actual_access:  read_only
        .address_space:  global
        .offset:         48
        .size:           8
        .value_kind:     global_buffer
      - .actual_access:  read_only
        .address_space:  global
        .offset:         56
        .size:           8
        .value_kind:     global_buffer
      - .offset:         64
        .size:           4
        .value_kind:     by_value
      - .actual_access:  read_only
        .address_space:  global
        .offset:         72
        .size:           8
        .value_kind:     global_buffer
      - .actual_access:  read_only
        .address_space:  global
        .offset:         80
        .size:           8
        .value_kind:     global_buffer
      - .actual_access:  read_only
        .address_space:  global
        .offset:         88
        .size:           8
        .value_kind:     global_buffer
      - .actual_access:  write_only
        .address_space:  global
        .offset:         96
        .size:           8
        .value_kind:     global_buffer
    .group_segment_fixed_size: 0
    .kernarg_segment_align: 8
    .kernarg_segment_size: 104
    .language:       OpenCL C
    .language_version:
      - 2
      - 0
    .max_flat_workgroup_size: 117
    .name:           fft_rtc_fwd_len156_factors_3_4_13_wgs_117_tpt_13_dp_op_CI_CI_unitstride_sbrr_C2R_dirReg
    .private_segment_fixed_size: 0
    .sgpr_count:     48
    .sgpr_spill_count: 0
    .symbol:         fft_rtc_fwd_len156_factors_3_4_13_wgs_117_tpt_13_dp_op_CI_CI_unitstride_sbrr_C2R_dirReg.kd
    .uniform_work_group_size: 1
    .uses_dynamic_stack: false
    .vgpr_count:     176
    .vgpr_spill_count: 0
    .wavefront_size: 64
amdhsa.target:   amdgcn-amd-amdhsa--gfx906
amdhsa.version:
  - 1
  - 2
...

	.end_amdgpu_metadata
